;; amdgpu-corpus repo=ROCm/rocFFT kind=compiled arch=gfx1030 opt=O3
	.text
	.amdgcn_target "amdgcn-amd-amdhsa--gfx1030"
	.amdhsa_code_object_version 6
	.protected	fft_rtc_back_len1584_factors_4_2_2_11_3_3_wgs_176_tpt_176_halfLds_dp_ip_CI_unitstride_sbrr_R2C_dirReg ; -- Begin function fft_rtc_back_len1584_factors_4_2_2_11_3_3_wgs_176_tpt_176_halfLds_dp_ip_CI_unitstride_sbrr_R2C_dirReg
	.globl	fft_rtc_back_len1584_factors_4_2_2_11_3_3_wgs_176_tpt_176_halfLds_dp_ip_CI_unitstride_sbrr_R2C_dirReg
	.p2align	8
	.type	fft_rtc_back_len1584_factors_4_2_2_11_3_3_wgs_176_tpt_176_halfLds_dp_ip_CI_unitstride_sbrr_R2C_dirReg,@function
fft_rtc_back_len1584_factors_4_2_2_11_3_3_wgs_176_tpt_176_halfLds_dp_ip_CI_unitstride_sbrr_R2C_dirReg: ; @fft_rtc_back_len1584_factors_4_2_2_11_3_3_wgs_176_tpt_176_halfLds_dp_ip_CI_unitstride_sbrr_R2C_dirReg
; %bb.0:
	s_clause 0x2
	s_load_dwordx4 s[8:11], s[4:5], 0x0
	s_load_dwordx2 s[2:3], s[4:5], 0x50
	s_load_dwordx2 s[12:13], s[4:5], 0x18
	v_mul_u32_u24_e32 v1, 0x175, v0
	v_mov_b32_e32 v3, 0
	v_add_nc_u32_sdwa v5, s6, v1 dst_sel:DWORD dst_unused:UNUSED_PAD src0_sel:DWORD src1_sel:WORD_1
	v_mov_b32_e32 v1, 0
	v_mov_b32_e32 v6, v3
	v_mov_b32_e32 v2, 0
	s_waitcnt lgkmcnt(0)
	v_cmp_lt_u64_e64 s0, s[10:11], 2
	s_and_b32 vcc_lo, exec_lo, s0
	s_cbranch_vccnz .LBB0_8
; %bb.1:
	s_load_dwordx2 s[0:1], s[4:5], 0x10
	v_mov_b32_e32 v1, 0
	s_add_u32 s6, s12, 8
	v_mov_b32_e32 v2, 0
	s_addc_u32 s7, s13, 0
	s_mov_b64 s[16:17], 1
	s_waitcnt lgkmcnt(0)
	s_add_u32 s14, s0, 8
	s_addc_u32 s15, s1, 0
.LBB0_2:                                ; =>This Inner Loop Header: Depth=1
	s_load_dwordx2 s[18:19], s[14:15], 0x0
                                        ; implicit-def: $vgpr7_vgpr8
	s_mov_b32 s0, exec_lo
	s_waitcnt lgkmcnt(0)
	v_or_b32_e32 v4, s19, v6
	v_cmpx_ne_u64_e32 0, v[3:4]
	s_xor_b32 s1, exec_lo, s0
	s_cbranch_execz .LBB0_4
; %bb.3:                                ;   in Loop: Header=BB0_2 Depth=1
	v_cvt_f32_u32_e32 v4, s18
	v_cvt_f32_u32_e32 v7, s19
	s_sub_u32 s0, 0, s18
	s_subb_u32 s20, 0, s19
	v_fmac_f32_e32 v4, 0x4f800000, v7
	v_rcp_f32_e32 v4, v4
	v_mul_f32_e32 v4, 0x5f7ffffc, v4
	v_mul_f32_e32 v7, 0x2f800000, v4
	v_trunc_f32_e32 v7, v7
	v_fmac_f32_e32 v4, 0xcf800000, v7
	v_cvt_u32_f32_e32 v7, v7
	v_cvt_u32_f32_e32 v4, v4
	v_mul_lo_u32 v8, s0, v7
	v_mul_hi_u32 v9, s0, v4
	v_mul_lo_u32 v10, s20, v4
	v_add_nc_u32_e32 v8, v9, v8
	v_mul_lo_u32 v9, s0, v4
	v_add_nc_u32_e32 v8, v8, v10
	v_mul_hi_u32 v10, v4, v9
	v_mul_lo_u32 v11, v4, v8
	v_mul_hi_u32 v12, v4, v8
	v_mul_hi_u32 v13, v7, v9
	v_mul_lo_u32 v9, v7, v9
	v_mul_hi_u32 v14, v7, v8
	v_mul_lo_u32 v8, v7, v8
	v_add_co_u32 v10, vcc_lo, v10, v11
	v_add_co_ci_u32_e32 v11, vcc_lo, 0, v12, vcc_lo
	v_add_co_u32 v9, vcc_lo, v10, v9
	v_add_co_ci_u32_e32 v9, vcc_lo, v11, v13, vcc_lo
	v_add_co_ci_u32_e32 v10, vcc_lo, 0, v14, vcc_lo
	v_add_co_u32 v8, vcc_lo, v9, v8
	v_add_co_ci_u32_e32 v9, vcc_lo, 0, v10, vcc_lo
	v_add_co_u32 v4, vcc_lo, v4, v8
	v_add_co_ci_u32_e32 v7, vcc_lo, v7, v9, vcc_lo
	v_mul_hi_u32 v8, s0, v4
	v_mul_lo_u32 v10, s20, v4
	v_mul_lo_u32 v9, s0, v7
	v_add_nc_u32_e32 v8, v8, v9
	v_mul_lo_u32 v9, s0, v4
	v_add_nc_u32_e32 v8, v8, v10
	v_mul_hi_u32 v10, v4, v9
	v_mul_lo_u32 v11, v4, v8
	v_mul_hi_u32 v12, v4, v8
	v_mul_hi_u32 v13, v7, v9
	v_mul_lo_u32 v9, v7, v9
	v_mul_hi_u32 v14, v7, v8
	v_mul_lo_u32 v8, v7, v8
	v_add_co_u32 v10, vcc_lo, v10, v11
	v_add_co_ci_u32_e32 v11, vcc_lo, 0, v12, vcc_lo
	v_add_co_u32 v9, vcc_lo, v10, v9
	v_add_co_ci_u32_e32 v9, vcc_lo, v11, v13, vcc_lo
	v_add_co_ci_u32_e32 v10, vcc_lo, 0, v14, vcc_lo
	v_add_co_u32 v8, vcc_lo, v9, v8
	v_add_co_ci_u32_e32 v9, vcc_lo, 0, v10, vcc_lo
	v_add_co_u32 v4, vcc_lo, v4, v8
	v_add_co_ci_u32_e32 v11, vcc_lo, v7, v9, vcc_lo
	v_mul_hi_u32 v13, v5, v4
	v_mad_u64_u32 v[9:10], null, v6, v4, 0
	v_mad_u64_u32 v[7:8], null, v5, v11, 0
	;; [unrolled: 1-line block ×3, first 2 shown]
	v_add_co_u32 v4, vcc_lo, v13, v7
	v_add_co_ci_u32_e32 v7, vcc_lo, 0, v8, vcc_lo
	v_add_co_u32 v4, vcc_lo, v4, v9
	v_add_co_ci_u32_e32 v4, vcc_lo, v7, v10, vcc_lo
	v_add_co_ci_u32_e32 v7, vcc_lo, 0, v12, vcc_lo
	v_add_co_u32 v4, vcc_lo, v4, v11
	v_add_co_ci_u32_e32 v9, vcc_lo, 0, v7, vcc_lo
	v_mul_lo_u32 v10, s19, v4
	v_mad_u64_u32 v[7:8], null, s18, v4, 0
	v_mul_lo_u32 v11, s18, v9
	v_sub_co_u32 v7, vcc_lo, v5, v7
	v_add3_u32 v8, v8, v11, v10
	v_sub_nc_u32_e32 v10, v6, v8
	v_subrev_co_ci_u32_e64 v10, s0, s19, v10, vcc_lo
	v_add_co_u32 v11, s0, v4, 2
	v_add_co_ci_u32_e64 v12, s0, 0, v9, s0
	v_sub_co_u32 v13, s0, v7, s18
	v_sub_co_ci_u32_e32 v8, vcc_lo, v6, v8, vcc_lo
	v_subrev_co_ci_u32_e64 v10, s0, 0, v10, s0
	v_cmp_le_u32_e32 vcc_lo, s18, v13
	v_cmp_eq_u32_e64 s0, s19, v8
	v_cndmask_b32_e64 v13, 0, -1, vcc_lo
	v_cmp_le_u32_e32 vcc_lo, s19, v10
	v_cndmask_b32_e64 v14, 0, -1, vcc_lo
	v_cmp_le_u32_e32 vcc_lo, s18, v7
	;; [unrolled: 2-line block ×3, first 2 shown]
	v_cndmask_b32_e64 v15, 0, -1, vcc_lo
	v_cmp_eq_u32_e32 vcc_lo, s19, v10
	v_cndmask_b32_e64 v7, v15, v7, s0
	v_cndmask_b32_e32 v10, v14, v13, vcc_lo
	v_add_co_u32 v13, vcc_lo, v4, 1
	v_add_co_ci_u32_e32 v14, vcc_lo, 0, v9, vcc_lo
	v_cmp_ne_u32_e32 vcc_lo, 0, v10
	v_cndmask_b32_e32 v8, v14, v12, vcc_lo
	v_cndmask_b32_e32 v10, v13, v11, vcc_lo
	v_cmp_ne_u32_e32 vcc_lo, 0, v7
	v_cndmask_b32_e32 v8, v9, v8, vcc_lo
	v_cndmask_b32_e32 v7, v4, v10, vcc_lo
.LBB0_4:                                ;   in Loop: Header=BB0_2 Depth=1
	s_andn2_saveexec_b32 s0, s1
	s_cbranch_execz .LBB0_6
; %bb.5:                                ;   in Loop: Header=BB0_2 Depth=1
	v_cvt_f32_u32_e32 v4, s18
	s_sub_i32 s1, 0, s18
	v_rcp_iflag_f32_e32 v4, v4
	v_mul_f32_e32 v4, 0x4f7ffffe, v4
	v_cvt_u32_f32_e32 v4, v4
	v_mul_lo_u32 v7, s1, v4
	v_mul_hi_u32 v7, v4, v7
	v_add_nc_u32_e32 v4, v4, v7
	v_mul_hi_u32 v4, v5, v4
	v_mul_lo_u32 v7, v4, s18
	v_add_nc_u32_e32 v8, 1, v4
	v_sub_nc_u32_e32 v7, v5, v7
	v_subrev_nc_u32_e32 v9, s18, v7
	v_cmp_le_u32_e32 vcc_lo, s18, v7
	v_cndmask_b32_e32 v7, v7, v9, vcc_lo
	v_cndmask_b32_e32 v4, v4, v8, vcc_lo
	v_cmp_le_u32_e32 vcc_lo, s18, v7
	v_add_nc_u32_e32 v8, 1, v4
	v_cndmask_b32_e32 v7, v4, v8, vcc_lo
	v_mov_b32_e32 v8, v3
.LBB0_6:                                ;   in Loop: Header=BB0_2 Depth=1
	s_or_b32 exec_lo, exec_lo, s0
	s_load_dwordx2 s[0:1], s[6:7], 0x0
	v_mul_lo_u32 v4, v8, s18
	v_mul_lo_u32 v11, v7, s19
	v_mad_u64_u32 v[9:10], null, v7, s18, 0
	s_add_u32 s16, s16, 1
	s_addc_u32 s17, s17, 0
	s_add_u32 s6, s6, 8
	s_addc_u32 s7, s7, 0
	;; [unrolled: 2-line block ×3, first 2 shown]
	v_add3_u32 v4, v10, v11, v4
	v_sub_co_u32 v5, vcc_lo, v5, v9
	v_sub_co_ci_u32_e32 v4, vcc_lo, v6, v4, vcc_lo
	s_waitcnt lgkmcnt(0)
	v_mul_lo_u32 v6, s1, v5
	v_mul_lo_u32 v4, s0, v4
	v_mad_u64_u32 v[1:2], null, s0, v5, v[1:2]
	v_cmp_ge_u64_e64 s0, s[16:17], s[10:11]
	s_and_b32 vcc_lo, exec_lo, s0
	v_add3_u32 v2, v6, v2, v4
	s_cbranch_vccnz .LBB0_9
; %bb.7:                                ;   in Loop: Header=BB0_2 Depth=1
	v_mov_b32_e32 v5, v7
	v_mov_b32_e32 v6, v8
	s_branch .LBB0_2
.LBB0_8:
	v_mov_b32_e32 v8, v6
	v_mov_b32_e32 v7, v5
.LBB0_9:
	s_lshl_b64 s[0:1], s[10:11], 3
	v_mul_hi_u32 v3, 0x1745d18, v0
	s_add_u32 s0, s12, s0
	s_addc_u32 s1, s13, s1
	s_load_dwordx2 s[0:1], s[0:1], 0x0
	s_load_dwordx2 s[4:5], s[4:5], 0x20
	v_mul_u32_u24_e32 v3, 0xb0, v3
	v_sub_nc_u32_e32 v68, v0, v3
	v_add_nc_u32_e32 v72, 0xb0, v68
	v_add_nc_u32_e32 v74, 0x160, v68
	s_waitcnt lgkmcnt(0)
	v_mul_lo_u32 v4, s0, v8
	v_mul_lo_u32 v5, s1, v7
	v_mad_u64_u32 v[1:2], null, s0, v7, v[1:2]
	v_cmp_gt_u64_e32 vcc_lo, s[4:5], v[7:8]
	v_cmp_le_u64_e64 s0, s[4:5], v[7:8]
	v_add3_u32 v2, v5, v2, v4
	s_and_saveexec_b32 s1, s0
	s_xor_b32 s0, exec_lo, s1
; %bb.10:
	v_add_nc_u32_e32 v72, 0xb0, v68
	v_add_nc_u32_e32 v74, 0x160, v68
; %bb.11:
	s_or_saveexec_b32 s1, s0
	v_lshlrev_b64 v[70:71], 4, v[1:2]
	v_lshl_add_u32 v84, v68, 4, 0
	s_xor_b32 exec_lo, exec_lo, s1
	s_cbranch_execz .LBB0_13
; %bb.12:
	v_mov_b32_e32 v69, 0
	v_add_co_u32 v2, s0, s2, v70
	v_add_co_ci_u32_e64 v3, s0, s3, v71, s0
	v_lshlrev_b64 v[0:1], 4, v[68:69]
	v_add_co_u32 v16, s0, v2, v0
	v_add_co_ci_u32_e64 v17, s0, v3, v1, s0
	v_add_co_u32 v4, s0, 0x800, v16
	v_add_co_ci_u32_e64 v5, s0, 0, v17, s0
	;; [unrolled: 2-line block ×9, first 2 shown]
	s_clause 0x8
	global_load_dwordx4 v[0:3], v[16:17], off
	global_load_dwordx4 v[4:7], v[4:5], off offset:768
	global_load_dwordx4 v[8:11], v[8:9], off offset:1536
	;; [unrolled: 1-line block ×7, first 2 shown]
	global_load_dwordx4 v[32:35], v[32:33], off
	s_waitcnt vmcnt(8)
	ds_write_b128 v84, v[0:3]
	s_waitcnt vmcnt(7)
	ds_write_b128 v84, v[4:7] offset:2816
	s_waitcnt vmcnt(6)
	ds_write_b128 v84, v[8:11] offset:5632
	;; [unrolled: 2-line block ×8, first 2 shown]
.LBB0_13:
	s_or_b32 exec_lo, exec_lo, s1
	s_waitcnt lgkmcnt(0)
	s_barrier
	buffer_gl0_inv
	ds_read_b128 v[0:3], v84 offset:12672
	ds_read_b128 v[4:7], v84
	ds_read_b128 v[8:11], v84 offset:6336
	ds_read_b128 v[12:15], v84 offset:19008
	;; [unrolled: 1-line block ×10, first 2 shown]
	s_mov_b32 s1, exec_lo
	s_waitcnt lgkmcnt(0)
	s_barrier
	buffer_gl0_inv
	v_add_f64 v[0:1], v[4:5], -v[0:1]
	v_add_f64 v[2:3], v[6:7], -v[2:3]
	;; [unrolled: 1-line block ×12, first 2 shown]
	v_fma_f64 v[44:45], v[4:5], 2.0, -v[0:1]
	v_fma_f64 v[46:47], v[6:7], 2.0, -v[2:3]
	;; [unrolled: 1-line block ×12, first 2 shown]
	v_add_f64 v[16:17], v[0:1], v[14:15]
	v_add_f64 v[18:19], v[2:3], -v[12:13]
	v_add_f64 v[20:21], v[48:49], v[20:21]
	v_add_f64 v[12:13], v[52:53], v[38:39]
	v_add_f64 v[14:15], v[54:55], -v[36:37]
	v_add_f64 v[22:23], v[50:51], -v[22:23]
	;; [unrolled: 1-line block ×8, first 2 shown]
	v_fma_f64 v[32:33], v[0:1], 2.0, -v[16:17]
	v_fma_f64 v[34:35], v[2:3], 2.0, -v[18:19]
	;; [unrolled: 1-line block ×6, first 2 shown]
	v_mad_u32_u24 v45, v68, 48, v84
	v_lshl_add_u32 v44, v72, 6, 0
	v_fma_f64 v[46:47], v[8:9], 2.0, -v[28:29]
	v_fma_f64 v[48:49], v[10:11], 2.0, -v[30:31]
	;; [unrolled: 1-line block ×6, first 2 shown]
	ds_write_b128 v45, v[16:19] offset:48
	ds_write_b128 v45, v[32:35] offset:16
	;; [unrolled: 1-line block ×3, first 2 shown]
	ds_write_b128 v45, v[40:43]
	ds_write_b128 v44, v[46:49]
	ds_write_b128 v44, v[36:39] offset:16
	ds_write_b128 v44, v[28:31] offset:32
	;; [unrolled: 1-line block ×3, first 2 shown]
	v_cmpx_gt_u32_e32 44, v68
	s_cbranch_execz .LBB0_15
; %bb.14:
	v_lshl_add_u32 v16, v74, 6, 0
	ds_write_b128 v16, v[0:3]
	ds_write_b128 v16, v[8:11] offset:16
	ds_write_b128 v16, v[4:7] offset:32
	;; [unrolled: 1-line block ×3, first 2 shown]
.LBB0_15:
	s_or_b32 exec_lo, exec_lo, s1
	v_mad_i32_i24 v12, 0xffffffd0, v72, v44
	v_lshl_add_u32 v86, v74, 4, 0
	v_mad_i32_i24 v16, 0xffffffd0, v68, v45
	s_waitcnt lgkmcnt(0)
	s_barrier
	buffer_gl0_inv
	ds_read_b128 v[32:35], v84 offset:12672
	ds_read_b128 v[28:31], v84 offset:15488
	ds_read_b128 v[20:23], v12
	ds_read_b128 v[12:15], v86
	;; [unrolled: 1-line block ×3, first 2 shown]
	ds_read_b128 v[16:19], v16 offset:8448
	ds_read_b128 v[40:43], v84 offset:18304
	;; [unrolled: 1-line block ×3, first 2 shown]
	v_mul_i32_i24_e32 v46, 0xffffffd0, v68
	v_cmp_gt_u32_e64 s0, 0x58, v68
	v_add_nc_u32_e32 v85, v45, v46
	s_and_saveexec_b32 s1, s0
	s_cbranch_execz .LBB0_17
; %bb.16:
	ds_read_b128 v[0:3], v85 offset:11264
	ds_read_b128 v[8:11], v84 offset:23936
.LBB0_17:
	s_or_b32 exec_lo, exec_lo, s1
	v_and_b32_e32 v45, 3, v68
	v_lshlrev_b32_e32 v78, 1, v68
	v_add_nc_u32_e32 v77, 0x210, v68
	v_lshlrev_b32_e32 v80, 1, v72
	v_lshlrev_b32_e32 v82, 1, v74
	;; [unrolled: 1-line block ×3, first 2 shown]
	v_add_nc_u32_e32 v76, 0x2c0, v68
	global_load_dwordx4 v[46:49], v46, s[8:9]
	s_waitcnt vmcnt(0) lgkmcnt(0)
	s_barrier
	buffer_gl0_inv
	v_mul_f64 v[50:51], v[34:35], v[48:49]
	v_mul_f64 v[52:53], v[32:33], v[48:49]
	;; [unrolled: 1-line block ×10, first 2 shown]
	v_fma_f64 v[32:33], v[32:33], v[46:47], v[50:51]
	v_fma_f64 v[34:35], v[34:35], v[46:47], -v[52:53]
	v_fma_f64 v[50:51], v[28:29], v[46:47], v[54:55]
	v_fma_f64 v[52:53], v[30:31], v[46:47], -v[56:57]
	;; [unrolled: 2-line block ×5, first 2 shown]
	v_mul_i32_i24_e32 v28, 0xffffffd0, v72
	v_add_f64 v[29:30], v[24:25], -v[32:33]
	v_add_f64 v[31:32], v[26:27], -v[34:35]
	;; [unrolled: 1-line block ×10, first 2 shown]
	v_lshlrev_b32_e32 v53, 1, v77
	v_lshlrev_b32_e32 v52, 1, v76
	v_fma_f64 v[24:25], v[24:25], 2.0, -v[29:30]
	v_fma_f64 v[26:27], v[26:27], 2.0, -v[31:32]
	;; [unrolled: 1-line block ×10, first 2 shown]
	v_and_or_b32 v0, 0x1f8, v78, v45
	v_and_or_b32 v1, 0x3f8, v80, v45
	;; [unrolled: 1-line block ×4, first 2 shown]
	v_lshl_add_u32 v0, v0, 4, 0
	v_lshl_add_u32 v1, v1, 4, 0
	;; [unrolled: 1-line block ×4, first 2 shown]
	ds_write_b128 v0, v[29:32] offset:64
	ds_write_b128 v0, v[24:27]
	ds_write_b128 v1, v[20:23]
	ds_write_b128 v1, v[33:36] offset:64
	ds_write_b128 v2, v[12:15]
	ds_write_b128 v2, v[37:40] offset:64
	;; [unrolled: 2-line block ×3, first 2 shown]
	s_and_saveexec_b32 s1, s0
	s_cbranch_execz .LBB0_19
; %bb.18:
	v_and_or_b32 v0, 0x7f8, v52, v45
	v_lshl_add_u32 v0, v0, 4, 0
	ds_write_b128 v0, v[16:19]
	ds_write_b128 v0, v[8:11] offset:64
.LBB0_19:
	s_or_b32 exec_lo, exec_lo, s1
	v_add_nc_u32_e32 v87, v44, v28
	s_waitcnt lgkmcnt(0)
	s_barrier
	buffer_gl0_inv
	ds_read_b128 v[12:15], v84 offset:12672
	ds_read_b128 v[24:27], v84 offset:15488
	ds_read_b128 v[36:39], v87
	ds_read_b128 v[20:23], v86
	;; [unrolled: 1-line block ×3, first 2 shown]
	ds_read_b128 v[44:47], v85 offset:8448
	ds_read_b128 v[32:35], v84 offset:18304
	;; [unrolled: 1-line block ×3, first 2 shown]
	s_and_saveexec_b32 s1, s0
	s_cbranch_execz .LBB0_21
; %bb.20:
	ds_read_b128 v[16:19], v85 offset:11264
	ds_read_b128 v[8:11], v84 offset:23936
.LBB0_21:
	s_or_b32 exec_lo, exec_lo, s1
	v_and_b32_e32 v54, 7, v68
	v_lshlrev_b32_e32 v40, 4, v54
	global_load_dwordx4 v[40:43], v40, s[8:9] offset:64
	s_waitcnt vmcnt(0) lgkmcnt(0)
	s_barrier
	buffer_gl0_inv
	v_mul_f64 v[48:49], v[14:15], v[42:43]
	v_mul_f64 v[50:51], v[12:13], v[42:43]
	;; [unrolled: 1-line block ×10, first 2 shown]
	v_fma_f64 v[12:13], v[12:13], v[40:41], v[48:49]
	v_fma_f64 v[14:15], v[14:15], v[40:41], -v[50:51]
	v_fma_f64 v[48:49], v[24:25], v[40:41], v[55:56]
	v_fma_f64 v[50:51], v[26:27], v[40:41], -v[57:58]
	;; [unrolled: 2-line block ×5, first 2 shown]
	v_add_f64 v[24:25], v[0:1], -v[12:13]
	v_add_f64 v[26:27], v[2:3], -v[14:15]
	;; [unrolled: 1-line block ×10, first 2 shown]
	v_fma_f64 v[0:1], v[0:1], 2.0, -v[24:25]
	v_fma_f64 v[2:3], v[2:3], 2.0, -v[26:27]
	;; [unrolled: 1-line block ×10, first 2 shown]
	v_and_or_b32 v16, 0x1f0, v78, v54
	v_and_or_b32 v17, 0x3f0, v80, v54
	;; [unrolled: 1-line block ×4, first 2 shown]
	v_lshl_add_u32 v16, v16, 4, 0
	v_lshl_add_u32 v17, v17, 4, 0
	;; [unrolled: 1-line block ×4, first 2 shown]
	ds_write_b128 v16, v[24:27] offset:128
	ds_write_b128 v16, v[0:3]
	ds_write_b128 v17, v[8:11]
	ds_write_b128 v17, v[28:31] offset:128
	ds_write_b128 v18, v[36:39]
	ds_write_b128 v18, v[32:35] offset:128
	;; [unrolled: 2-line block ×3, first 2 shown]
	s_and_saveexec_b32 s1, s0
	s_cbranch_execz .LBB0_23
; %bb.22:
	v_and_or_b32 v16, 0x7f0, v52, v54
	v_lshl_add_u32 v16, v16, 4, 0
	ds_write_b128 v16, v[48:51]
	ds_write_b128 v16, v[12:15] offset:128
.LBB0_23:
	s_or_b32 exec_lo, exec_lo, s1
	v_cmp_gt_u32_e64 s1, 0x90, v68
	s_waitcnt lgkmcnt(0)
	s_barrier
	buffer_gl0_inv
	s_and_saveexec_b32 s4, s1
	s_cbranch_execz .LBB0_25
; %bb.24:
	ds_read_b128 v[0:3], v84
	ds_read_b128 v[24:27], v84 offset:2304
	ds_read_b128 v[8:11], v84 offset:4608
	;; [unrolled: 1-line block ×10, first 2 shown]
.LBB0_25:
	s_or_b32 exec_lo, exec_lo, s4
	s_waitcnt lgkmcnt(0)
	s_barrier
	buffer_gl0_inv
	s_and_saveexec_b32 s33, s1
	s_cbranch_execz .LBB0_27
; %bb.26:
	v_and_b32_e32 v69, 15, v68
	s_mov_b32 s10, 0xbb3a28a1
	s_mov_b32 s12, 0xf8bb580b
	;; [unrolled: 1-line block ×4, first 2 shown]
	v_mul_u32_u24_e32 v16, 10, v69
	s_mov_b32 s11, 0xbfe82f19
	s_mov_b32 s13, 0x3fe14ced
	;; [unrolled: 1-line block ×4, first 2 shown]
	v_lshlrev_b32_e32 v20, 4, v16
	s_mov_b32 s16, s12
	s_mov_b32 s5, 0xbfefac9e
	;; [unrolled: 1-line block ×4, first 2 shown]
	s_clause 0x9
	global_load_dwordx4 v[64:67], v20, s[8:9] offset:256
	global_load_dwordx4 v[60:63], v20, s[8:9] offset:240
	;; [unrolled: 1-line block ×10, first 2 shown]
	s_mov_b32 s31, 0x3fd207e7
	s_mov_b32 s30, s14
	;; [unrolled: 1-line block ×14, first 2 shown]
	s_waitcnt vmcnt(9)
	v_mul_f64 v[104:105], v[34:35], v[66:67]
	v_mul_f64 v[66:67], v[32:33], v[66:67]
	s_waitcnt vmcnt(7)
	v_mul_f64 v[110:111], v[42:43], v[58:59]
	s_waitcnt vmcnt(6)
	;; [unrolled: 2-line block ×3, first 2 shown]
	v_mul_f64 v[114:115], v[6:7], v[90:91]
	v_mul_f64 v[124:125], v[24:25], v[54:55]
	;; [unrolled: 1-line block ×6, first 2 shown]
	s_waitcnt vmcnt(1)
	v_mul_f64 v[126:127], v[10:11], v[18:19]
	v_mul_f64 v[128:129], v[8:9], v[18:19]
	s_waitcnt vmcnt(0)
	v_mul_f64 v[130:131], v[14:15], v[22:23]
	v_mul_f64 v[132:133], v[12:13], v[22:23]
	;; [unrolled: 1-line block ×8, first 2 shown]
	v_fma_f64 v[54:55], v[32:33], v[64:65], v[104:105]
	v_fma_f64 v[58:59], v[34:35], v[64:65], -v[66:67]
	v_fma_f64 v[32:33], v[40:41], v[56:57], v[110:111]
	v_fma_f64 v[40:41], v[24:25], v[52:53], v[112:113]
	;; [unrolled: 1-line block ×3, first 2 shown]
	v_fma_f64 v[26:27], v[26:27], v[52:53], -v[124:125]
	v_fma_f64 v[6:7], v[6:7], v[88:89], -v[90:91]
	v_fma_f64 v[62:63], v[36:37], v[60:61], v[106:107]
	v_fma_f64 v[38:39], v[38:39], v[60:61], -v[108:109]
	v_fma_f64 v[24:25], v[42:43], v[56:57], -v[116:117]
	v_fma_f64 v[8:9], v[8:9], v[16:17], v[126:127]
	v_fma_f64 v[10:11], v[10:11], v[16:17], -v[128:129]
	v_fma_f64 v[12:13], v[12:13], v[20:21], v[130:131]
	;; [unrolled: 2-line block ×4, first 2 shown]
	v_fma_f64 v[18:19], v[48:49], v[100:101], v[122:123]
	v_fma_f64 v[30:31], v[30:31], v[96:97], -v[98:99]
	v_fma_f64 v[22:23], v[50:51], v[100:101], -v[102:103]
	v_lshrrev_b32_e32 v42, 4, v68
	v_mul_u32_u24_e32 v73, 0xb0, v42
	v_add_f64 v[20:21], v[40:41], -v[4:5]
	v_add_f64 v[60:61], v[40:41], v[4:5]
	v_add_f64 v[52:53], v[26:27], -v[6:7]
	v_add_f64 v[56:57], v[26:27], v[6:7]
	v_add_f64 v[26:27], v[2:3], v[26:27]
	;; [unrolled: 1-line block ×3, first 2 shown]
	v_add_f64 v[16:17], v[62:63], -v[32:33]
	v_add_f64 v[42:43], v[38:39], -v[24:25]
	;; [unrolled: 1-line block ×3, first 2 shown]
	v_add_f64 v[96:97], v[10:11], v[14:15]
	v_add_f64 v[98:99], v[10:11], -v[14:15]
	v_add_f64 v[100:101], v[8:9], v[12:13]
	v_add_f64 v[44:45], v[54:55], -v[34:35]
	v_add_f64 v[46:47], v[58:59], -v[36:37]
	;; [unrolled: 1-line block ×4, first 2 shown]
	v_add_f64 v[102:103], v[28:29], v[18:19]
	v_add_f64 v[64:65], v[58:59], v[36:37]
	;; [unrolled: 1-line block ×6, first 2 shown]
	v_mul_f64 v[106:107], v[20:21], s[14:15]
	v_mul_f64 v[122:123], v[20:21], s[16:17]
	;; [unrolled: 1-line block ×4, first 2 shown]
	v_add_f64 v[10:11], v[26:27], v[10:11]
	v_add_f64 v[8:9], v[40:41], v[8:9]
	v_mul_f64 v[130:131], v[52:53], s[16:17]
	v_mul_f64 v[112:113], v[20:21], s[10:11]
	;; [unrolled: 1-line block ×10, first 2 shown]
	s_mov_b32 s7, 0xbfed1bb4
	v_mul_f64 v[170:171], v[98:99], s[30:31]
	v_mul_f64 v[172:173], v[98:99], s[10:11]
	v_mul_f64 v[174:175], v[50:51], s[10:11]
	v_mul_f64 v[176:177], v[50:51], s[16:17]
	v_mul_f64 v[178:179], v[50:51], s[30:31]
	v_mul_f64 v[50:51], v[50:51], s[4:5]
	v_mul_f64 v[20:21], v[20:21], s[6:7]
	v_mul_f64 v[52:53], v[52:53], s[6:7]
	v_mul_f64 v[132:133], v[44:45], s[4:5]
	v_add_f64 v[10:11], v[10:11], v[30:31]
	v_add_f64 v[8:9], v[8:9], v[28:29]
	v_mul_f64 v[134:135], v[44:45], s[10:11]
	v_mul_f64 v[136:137], v[44:45], s[12:13]
	;; [unrolled: 1-line block ×20, first 2 shown]
	v_add_f64 v[10:11], v[10:11], v[38:39]
	v_add_f64 v[8:9], v[8:9], v[62:63]
	v_mul_f64 v[162:163], v[94:95], s[28:29]
	v_mul_f64 v[164:165], v[94:95], s[30:31]
	;; [unrolled: 1-line block ×7, first 2 shown]
	v_fma_f64 v[180:181], v[56:57], s[24:25], v[106:107]
	v_fma_f64 v[106:107], v[56:57], s[24:25], -v[106:107]
	v_fma_f64 v[186:187], v[56:57], s[26:27], v[122:123]
	v_fma_f64 v[122:123], v[56:57], s[26:27], -v[122:123]
	v_fma_f64 v[188:189], v[60:61], s[24:25], -v[124:125]
	v_fma_f64 v[124:125], v[60:61], s[24:25], v[124:125]
	v_fma_f64 v[190:191], v[60:61], s[22:23], -v[126:127]
	v_fma_f64 v[126:127], v[60:61], s[22:23], v[126:127]
	;; [unrolled: 2-line block ×3, first 2 shown]
	v_fma_f64 v[182:183], v[56:57], s[22:23], v[112:113]
	v_fma_f64 v[112:113], v[56:57], s[22:23], -v[112:113]
	v_fma_f64 v[184:185], v[56:57], s[20:21], v[118:119]
	v_fma_f64 v[118:119], v[56:57], s[20:21], -v[118:119]
	v_fma_f64 v[192:193], v[60:61], s[20:21], -v[128:129]
	v_fma_f64 v[128:129], v[60:61], s[20:21], v[128:129]
	v_fma_f64 v[244:245], v[100:101], s[24:25], -v[170:171]
	v_fma_f64 v[38:39], v[100:101], s[24:25], v[170:171]
	;; [unrolled: 2-line block ×8, first 2 shown]
	v_fma_f64 v[102:103], v[56:57], s[18:19], v[20:21]
	v_fma_f64 v[20:21], v[56:57], s[18:19], -v[20:21]
	v_fma_f64 v[56:57], v[60:61], s[18:19], -v[52:53]
	v_fma_f64 v[52:53], v[60:61], s[18:19], v[52:53]
	v_add_f64 v[10:11], v[10:11], v[58:59]
	v_add_f64 v[8:9], v[8:9], v[54:55]
	v_fma_f64 v[196:197], v[64:65], s[20:21], v[132:133]
	v_fma_f64 v[132:133], v[64:65], s[20:21], -v[132:133]
	v_fma_f64 v[198:199], v[64:65], s[18:19], v[110:111]
	v_fma_f64 v[110:111], v[64:65], s[18:19], -v[110:111]
	;; [unrolled: 2-line block ×15, first 2 shown]
	v_fma_f64 v[88:89], v[90:91], s[20:21], -v[150:151]
	v_fma_f64 v[150:151], v[90:91], s[20:21], v[150:151]
	v_fma_f64 v[222:223], v[90:91], s[18:19], -v[114:115]
	v_fma_f64 v[114:115], v[90:91], s[18:19], v[114:115]
	;; [unrolled: 2-line block ×10, first 2 shown]
	v_fma_f64 v[92:93], v[96:97], s[26:27], v[26:27]
	v_fma_f64 v[26:27], v[96:97], s[26:27], -v[26:27]
	v_fma_f64 v[234:235], v[96:97], s[20:21], v[162:163]
	v_fma_f64 v[162:163], v[96:97], s[20:21], -v[162:163]
	;; [unrolled: 2-line block ×4, first 2 shown]
	v_fma_f64 v[240:241], v[100:101], s[26:27], -v[40:41]
	v_fma_f64 v[40:41], v[100:101], s[26:27], v[40:41]
	v_fma_f64 v[242:243], v[100:101], s[20:21], -v[168:169]
	v_fma_f64 v[168:169], v[100:101], s[20:21], v[168:169]
	v_fma_f64 v[60:61], v[96:97], s[18:19], v[94:95]
	v_fma_f64 v[94:95], v[96:97], s[18:19], -v[94:95]
	v_fma_f64 v[96:97], v[100:101], s[18:19], -v[98:99]
	v_fma_f64 v[54:55], v[100:101], s[18:19], v[98:99]
	v_add_f64 v[58:59], v[2:3], v[180:181]
	v_add_f64 v[98:99], v[0:1], v[188:189]
	;; [unrolled: 1-line block ×110, first 2 shown]
	v_or_b32_e32 v44, v73, v69
	v_lshl_add_u32 v44, v44, 4, 0
	ds_write_b128 v44, v[28:31] offset:256
	ds_write_b128 v44, v[24:27] offset:768
	;; [unrolled: 1-line block ×9, first 2 shown]
	ds_write_b128 v44, v[4:7]
	ds_write_b128 v44, v[32:35] offset:2560
.LBB0_27:
	s_or_b32 exec_lo, exec_lo, s33
	v_mov_b32_e32 v0, 0xba2f
	v_mov_b32_e32 v79, 0
	s_waitcnt lgkmcnt(0)
	s_barrier
	buffer_gl0_inv
	v_mul_u32_u24_sdwa v0, v74, v0 dst_sel:DWORD dst_unused:UNUSED_PAD src0_sel:WORD_0 src1_sel:DWORD
	v_mov_b32_e32 v81, v79
	v_mov_b32_e32 v83, v79
	s_mov_b32 s4, 0xe8584caa
	s_mov_b32 s5, 0xbfebb67a
	v_lshrrev_b32_e32 v0, 23, v0
	s_mov_b32 s7, 0x3febb67a
	s_mov_b32 s6, s4
	v_mul_lo_u16 v2, 0xb0, v0
	v_lshlrev_b64 v[0:1], 4, v[78:79]
	v_sub_nc_u16 v2, v74, v2
	v_add_co_u32 v56, s1, s8, v0
	v_add_co_ci_u32_e64 v57, s1, s9, v1, s1
	v_and_b32_e32 v69, 0xffff, v2
	v_add_co_u32 v4, s1, 0xac0, v56
	v_add_co_ci_u32_e64 v5, s1, 0, v57, s1
	v_lshlrev_b32_e32 v2, 5, v69
	v_add_co_u32 v0, s1, 0x800, v56
	v_add_co_ci_u32_e64 v1, s1, 0, v57, s1
	v_add_co_u32 v10, s1, s8, v2
	v_add_co_ci_u32_e64 v11, null, s9, 0, s1
	s_clause 0x1
	global_load_dwordx4 v[0:3], v[0:1], off offset:704
	global_load_dwordx4 v[4:7], v[4:5], off offset:16
	v_add_co_u32 v8, s1, 0x800, v10
	v_add_co_ci_u32_e64 v9, s1, 0, v11, s1
	v_add_co_u32 v12, s1, 0xac0, v10
	v_add_co_ci_u32_e64 v13, s1, 0, v11, s1
	s_clause 0x1
	global_load_dwordx4 v[8:11], v[8:9], off offset:704
	global_load_dwordx4 v[12:15], v[12:13], off offset:16
	ds_read_b128 v[16:19], v85 offset:8448
	ds_read_b128 v[20:23], v84 offset:16896
	ds_read_b128 v[24:27], v84 offset:11264
	ds_read_b128 v[28:31], v84 offset:19712
	ds_read_b128 v[32:35], v84 offset:14080
	ds_read_b128 v[36:39], v84 offset:22528
	s_waitcnt vmcnt(3) lgkmcnt(5)
	v_mul_f64 v[40:41], v[18:19], v[2:3]
	v_mul_f64 v[42:43], v[16:17], v[2:3]
	s_waitcnt vmcnt(2) lgkmcnt(4)
	v_mul_f64 v[44:45], v[22:23], v[6:7]
	v_mul_f64 v[46:47], v[20:21], v[6:7]
	s_waitcnt lgkmcnt(3)
	v_mul_f64 v[48:49], v[26:27], v[2:3]
	v_mul_f64 v[2:3], v[24:25], v[2:3]
	s_waitcnt lgkmcnt(2)
	v_mul_f64 v[50:51], v[30:31], v[6:7]
	v_mul_f64 v[6:7], v[28:29], v[6:7]
	s_waitcnt vmcnt(1) lgkmcnt(1)
	v_mul_f64 v[52:53], v[34:35], v[10:11]
	v_mul_f64 v[10:11], v[32:33], v[10:11]
	s_waitcnt vmcnt(0) lgkmcnt(0)
	v_mul_f64 v[54:55], v[38:39], v[14:15]
	v_mul_f64 v[14:15], v[36:37], v[14:15]
	v_fma_f64 v[16:17], v[16:17], v[0:1], v[40:41]
	v_fma_f64 v[18:19], v[18:19], v[0:1], -v[42:43]
	v_fma_f64 v[20:21], v[20:21], v[4:5], v[44:45]
	v_fma_f64 v[22:23], v[22:23], v[4:5], -v[46:47]
	;; [unrolled: 2-line block ×4, first 2 shown]
	v_add_co_u32 v48, s1, 0x20c0, v56
	v_add_co_ci_u32_e64 v49, s1, 0, v57, s1
	v_fma_f64 v[32:33], v[32:33], v[8:9], v[52:53]
	v_fma_f64 v[34:35], v[34:35], v[8:9], -v[10:11]
	v_fma_f64 v[36:37], v[36:37], v[12:13], v[54:55]
	v_fma_f64 v[38:39], v[38:39], v[12:13], -v[14:15]
	ds_read_b128 v[0:3], v84
	ds_read_b128 v[4:7], v87
	;; [unrolled: 1-line block ×3, first 2 shown]
	v_add_co_u32 v54, s1, 0x2000, v56
	v_add_co_ci_u32_e64 v55, s1, 0, v57, s1
	v_lshlrev_b64 v[12:13], 4, v[80:81]
	v_lshlrev_b64 v[14:15], 4, v[82:83]
	s_waitcnt lgkmcnt(0)
	v_add_f64 v[40:41], v[16:17], v[20:21]
	v_add_f64 v[42:43], v[18:19], v[22:23]
	v_add_f64 v[58:59], v[18:19], -v[22:23]
	s_barrier
	v_add_f64 v[44:45], v[24:25], v[28:29]
	v_add_f64 v[46:47], v[26:27], v[30:31]
	v_add_f64 v[62:63], v[26:27], -v[30:31]
	buffer_gl0_inv
	v_add_f64 v[56:57], v[0:1], v[16:17]
	v_add_f64 v[18:19], v[2:3], v[18:19]
	;; [unrolled: 1-line block ×6, first 2 shown]
	v_add_f64 v[16:17], v[16:17], -v[20:21]
	v_add_f64 v[24:25], v[24:25], -v[28:29]
	v_add_f64 v[64:65], v[8:9], v[32:33]
	v_add_f64 v[66:67], v[34:35], -v[38:39]
	v_add_f64 v[34:35], v[10:11], v[34:35]
	v_add_f64 v[80:81], v[32:33], -v[36:37]
	v_fma_f64 v[40:41], v[40:41], -0.5, v[0:1]
	v_fma_f64 v[42:43], v[42:43], -0.5, v[2:3]
	;; [unrolled: 1-line block ×4, first 2 shown]
	v_add_f64 v[0:1], v[56:57], v[20:21]
	v_add_f64 v[2:3], v[18:19], v[22:23]
	v_fma_f64 v[32:33], v[50:51], -0.5, v[8:9]
	v_fma_f64 v[50:51], v[52:53], -0.5, v[10:11]
	v_add_co_u32 v52, s1, s8, v12
	v_add_co_ci_u32_e64 v53, s1, s9, v13, s1
	v_add_co_u32 v73, s1, s8, v14
	v_add_f64 v[4:5], v[60:61], v[28:29]
	v_add_f64 v[6:7], v[26:27], v[30:31]
	v_fma_f64 v[8:9], v[58:59], s[4:5], v[40:41]
	v_fma_f64 v[10:11], v[16:17], s[6:7], v[42:43]
	v_add_co_ci_u32_e64 v75, s1, s9, v15, s1
	v_fma_f64 v[12:13], v[58:59], s[6:7], v[40:41]
	v_fma_f64 v[14:15], v[16:17], s[4:5], v[42:43]
	;; [unrolled: 1-line block ×6, first 2 shown]
	v_add_f64 v[24:25], v[64:65], v[36:37]
	v_add_f64 v[26:27], v[34:35], v[38:39]
	v_fma_f64 v[28:29], v[66:67], s[4:5], v[32:33]
	v_fma_f64 v[30:31], v[80:81], s[6:7], v[50:51]
	;; [unrolled: 1-line block ×4, first 2 shown]
	v_add_co_u32 v36, s1, 0x20c0, v52
	v_add_co_ci_u32_e64 v37, s1, 0, v53, s1
	v_add_co_u32 v38, s1, 0x2000, v52
	v_add_co_ci_u32_e64 v39, s1, 0, v53, s1
	;; [unrolled: 2-line block ×3, first 2 shown]
	v_lshl_add_u32 v42, v69, 4, 0
	ds_write_b128 v84, v[0:3]
	ds_write_b128 v84, v[4:7] offset:8448
	ds_write_b128 v84, v[8:11] offset:2816
	;; [unrolled: 1-line block ×8, first 2 shown]
	s_waitcnt lgkmcnt(0)
	s_barrier
	buffer_gl0_inv
	s_clause 0x1
	global_load_dwordx4 v[0:3], v[54:55], off offset:192
	global_load_dwordx4 v[4:7], v[48:49], off offset:16
	v_add_co_u32 v16, s1, 0x2000, v73
	v_add_co_ci_u32_e64 v17, s1, 0, v75, s1
	s_clause 0x3
	global_load_dwordx4 v[8:11], v[38:39], off offset:192
	global_load_dwordx4 v[12:15], v[36:37], off offset:16
	;; [unrolled: 1-line block ×4, first 2 shown]
	ds_read_b128 v[24:27], v85 offset:8448
	ds_read_b128 v[28:31], v84 offset:16896
	;; [unrolled: 1-line block ×6, first 2 shown]
	s_waitcnt vmcnt(5) lgkmcnt(5)
	v_mul_f64 v[48:49], v[26:27], v[2:3]
	s_waitcnt vmcnt(4) lgkmcnt(4)
	v_mul_f64 v[50:51], v[30:31], v[6:7]
	v_mul_f64 v[2:3], v[24:25], v[2:3]
	v_mul_f64 v[6:7], v[28:29], v[6:7]
	s_waitcnt vmcnt(3) lgkmcnt(3)
	v_mul_f64 v[52:53], v[34:35], v[10:11]
	s_waitcnt vmcnt(2) lgkmcnt(2)
	v_mul_f64 v[54:55], v[38:39], v[14:15]
	v_mul_f64 v[10:11], v[32:33], v[10:11]
	v_mul_f64 v[14:15], v[36:37], v[14:15]
	;; [unrolled: 6-line block ×3, first 2 shown]
	v_fma_f64 v[24:25], v[24:25], v[0:1], v[48:49]
	v_fma_f64 v[28:29], v[28:29], v[4:5], v[50:51]
	v_fma_f64 v[26:27], v[26:27], v[0:1], -v[2:3]
	v_fma_f64 v[30:31], v[30:31], v[4:5], -v[6:7]
	v_fma_f64 v[32:33], v[32:33], v[8:9], v[52:53]
	v_fma_f64 v[36:37], v[36:37], v[12:13], v[54:55]
	v_fma_f64 v[34:35], v[34:35], v[8:9], -v[10:11]
	v_fma_f64 v[12:13], v[38:39], v[12:13], -v[14:15]
	;; [unrolled: 4-line block ×3, first 2 shown]
	ds_read_b128 v[0:3], v84
	ds_read_b128 v[4:7], v87
	;; [unrolled: 1-line block ×3, first 2 shown]
	s_waitcnt lgkmcnt(0)
	s_barrier
	buffer_gl0_inv
	v_add_f64 v[20:21], v[24:25], v[28:29]
	v_add_f64 v[22:23], v[26:27], v[30:31]
	v_add_f64 v[50:51], v[26:27], -v[30:31]
	v_add_f64 v[40:41], v[32:33], v[36:37]
	v_add_f64 v[42:43], v[34:35], v[12:13]
	;; [unrolled: 1-line block ×7, first 2 shown]
	v_add_f64 v[24:25], v[24:25], -v[28:29]
	v_add_f64 v[58:59], v[10:11], v[16:17]
	v_add_f64 v[52:53], v[4:5], v[32:33]
	v_add_f64 v[34:35], v[34:35], -v[12:13]
	v_add_f64 v[32:33], v[32:33], -v[36:37]
	v_add_f64 v[56:57], v[8:9], v[14:15]
	v_add_f64 v[60:61], v[16:17], -v[18:19]
	v_add_f64 v[62:63], v[14:15], -v[38:39]
	v_fma_f64 v[20:21], v[20:21], -0.5, v[0:1]
	v_fma_f64 v[22:23], v[22:23], -0.5, v[2:3]
	;; [unrolled: 1-line block ×4, first 2 shown]
	v_add_f64 v[0:1], v[48:49], v[28:29]
	v_fma_f64 v[44:45], v[44:45], -0.5, v[8:9]
	v_add_f64 v[2:3], v[26:27], v[30:31]
	v_fma_f64 v[46:47], v[46:47], -0.5, v[10:11]
	v_add_f64 v[6:7], v[54:55], v[12:13]
	v_add_f64 v[10:11], v[58:59], v[18:19]
	v_add_f64 v[4:5], v[52:53], v[36:37]
	v_add_f64 v[8:9], v[56:57], v[38:39]
	v_fma_f64 v[12:13], v[50:51], s[4:5], v[20:21]
	v_fma_f64 v[16:17], v[50:51], s[6:7], v[20:21]
	;; [unrolled: 1-line block ×12, first 2 shown]
	ds_write_b128 v84, v[0:3]
	ds_write_b128 v84, v[12:15] offset:8448
	ds_write_b128 v84, v[16:19] offset:16896
	ds_write_b128 v87, v[4:7]
	ds_write_b128 v87, v[20:23] offset:8448
	ds_write_b128 v87, v[24:27] offset:16896
	;; [unrolled: 3-line block ×3, first 2 shown]
	s_waitcnt lgkmcnt(0)
	s_barrier
	buffer_gl0_inv
	ds_read_b128 v[4:7], v84
	v_lshlrev_b32_e32 v0, 4, v68
	s_add_u32 s4, s8, 0x62c0
	s_addc_u32 s5, s9, 0
	s_mov_b32 s6, exec_lo
                                        ; implicit-def: $vgpr2_vgpr3
                                        ; implicit-def: $vgpr8_vgpr9
	v_sub_nc_u32_e32 v10, 0, v0
	v_cmpx_ne_u32_e32 0, v68
	s_xor_b32 s6, exec_lo, s6
	s_cbranch_execz .LBB0_29
; %bb.28:
	v_mov_b32_e32 v69, v79
	v_lshlrev_b64 v[0:1], 4, v[68:69]
	v_add_co_u32 v0, s1, s4, v0
	v_add_co_ci_u32_e64 v1, s1, s5, v1, s1
	global_load_dwordx4 v[11:14], v[0:1], off
	ds_read_b128 v[0:3], v10 offset:25344
	s_waitcnt lgkmcnt(0)
	v_add_f64 v[8:9], v[4:5], -v[0:1]
	v_add_f64 v[15:16], v[6:7], v[2:3]
	v_add_f64 v[2:3], v[6:7], -v[2:3]
	v_add_f64 v[0:1], v[4:5], v[0:1]
	v_mul_f64 v[6:7], v[8:9], 0.5
	v_mul_f64 v[4:5], v[15:16], 0.5
	;; [unrolled: 1-line block ×3, first 2 shown]
	s_waitcnt vmcnt(0)
	v_mul_f64 v[8:9], v[6:7], v[13:14]
	v_fma_f64 v[15:16], v[4:5], v[13:14], v[2:3]
	v_fma_f64 v[2:3], v[4:5], v[13:14], -v[2:3]
	v_fma_f64 v[17:18], v[0:1], 0.5, v[8:9]
	v_fma_f64 v[0:1], v[0:1], 0.5, -v[8:9]
	v_fma_f64 v[8:9], -v[11:12], v[6:7], v[15:16]
	v_fma_f64 v[2:3], -v[11:12], v[6:7], v[2:3]
	v_fma_f64 v[13:14], v[4:5], v[11:12], v[17:18]
	v_fma_f64 v[0:1], -v[4:5], v[11:12], v[0:1]
                                        ; implicit-def: $vgpr4_vgpr5
	ds_write_b64 v84, v[13:14]
.LBB0_29:
	s_andn2_saveexec_b32 s1, s6
	s_cbranch_execz .LBB0_31
; %bb.30:
	v_mov_b32_e32 v15, 0
	s_waitcnt lgkmcnt(0)
	v_add_f64 v[13:14], v[4:5], v[6:7]
	v_add_f64 v[0:1], v[4:5], -v[6:7]
	v_mov_b32_e32 v8, 0
	v_mov_b32_e32 v9, 0
	ds_read_b64 v[11:12], v15 offset:12680
	v_mov_b32_e32 v2, v8
	v_mov_b32_e32 v3, v9
	s_waitcnt lgkmcnt(0)
	v_xor_b32_e32 v12, 0x80000000, v12
	ds_write_b64 v84, v[13:14]
	ds_write_b64 v15, v[11:12] offset:12680
.LBB0_31:
	s_or_b32 exec_lo, exec_lo, s1
	v_mov_b32_e32 v73, 0
	ds_write_b64 v84, v[8:9] offset:8
	ds_write_b128 v10, v[0:3] offset:25344
	s_waitcnt lgkmcnt(2)
	v_lshlrev_b64 v[4:5], 4, v[72:73]
	v_mov_b32_e32 v75, v73
	v_mov_b32_e32 v78, v73
	v_lshlrev_b64 v[11:12], 4, v[74:75]
	v_add_co_u32 v4, s1, s4, v4
	v_add_co_ci_u32_e64 v5, s1, s5, v5, s1
	v_lshlrev_b64 v[8:9], 4, v[77:78]
	v_add_co_u32 v11, s1, s4, v11
	global_load_dwordx4 v[4:7], v[4:5], off
	v_add_co_ci_u32_e64 v12, s1, s5, v12, s1
	v_add_co_u32 v8, s1, s4, v8
	v_add_co_ci_u32_e64 v9, s1, s5, v9, s1
	global_load_dwordx4 v[11:14], v[11:12], off
	ds_read_b128 v[0:3], v87
	ds_read_b128 v[15:18], v10 offset:22528
	global_load_dwordx4 v[19:22], v[8:9], off
	s_waitcnt lgkmcnt(0)
	v_add_f64 v[8:9], v[0:1], -v[15:16]
	v_add_f64 v[23:24], v[2:3], v[17:18]
	v_add_f64 v[2:3], v[2:3], -v[17:18]
	v_add_f64 v[0:1], v[0:1], v[15:16]
	v_mul_f64 v[8:9], v[8:9], 0.5
	v_mul_f64 v[17:18], v[23:24], 0.5
	;; [unrolled: 1-line block ×3, first 2 shown]
	s_waitcnt vmcnt(2)
	v_mul_f64 v[15:16], v[8:9], v[6:7]
	v_fma_f64 v[23:24], v[17:18], v[6:7], v[2:3]
	v_fma_f64 v[6:7], v[17:18], v[6:7], -v[2:3]
	v_fma_f64 v[25:26], v[0:1], 0.5, v[15:16]
	v_fma_f64 v[15:16], v[0:1], 0.5, -v[15:16]
	v_fma_f64 v[2:3], -v[4:5], v[8:9], v[23:24]
	v_fma_f64 v[6:7], -v[4:5], v[8:9], v[6:7]
	v_fma_f64 v[0:1], v[17:18], v[4:5], v[25:26]
	v_fma_f64 v[4:5], -v[17:18], v[4:5], v[15:16]
	ds_write_b128 v87, v[0:3]
	ds_write_b128 v10, v[4:7] offset:22528
	ds_read_b128 v[0:3], v86
	ds_read_b128 v[4:7], v10 offset:19712
	s_waitcnt lgkmcnt(0)
	v_add_f64 v[8:9], v[0:1], -v[4:5]
	v_add_f64 v[15:16], v[2:3], v[6:7]
	v_add_f64 v[2:3], v[2:3], -v[6:7]
	v_add_f64 v[0:1], v[0:1], v[4:5]
	v_mul_f64 v[6:7], v[8:9], 0.5
	v_mul_f64 v[8:9], v[15:16], 0.5
	;; [unrolled: 1-line block ×3, first 2 shown]
	s_waitcnt vmcnt(1)
	v_mul_f64 v[4:5], v[6:7], v[13:14]
	v_fma_f64 v[15:16], v[8:9], v[13:14], v[2:3]
	v_fma_f64 v[13:14], v[8:9], v[13:14], -v[2:3]
	v_fma_f64 v[17:18], v[0:1], 0.5, v[4:5]
	v_fma_f64 v[4:5], v[0:1], 0.5, -v[4:5]
	v_fma_f64 v[2:3], -v[11:12], v[6:7], v[15:16]
	v_fma_f64 v[6:7], -v[11:12], v[6:7], v[13:14]
	v_fma_f64 v[0:1], v[8:9], v[11:12], v[17:18]
	v_fma_f64 v[4:5], -v[8:9], v[11:12], v[4:5]
	ds_write_b128 v86, v[0:3]
	ds_write_b128 v10, v[4:7] offset:19712
	ds_read_b128 v[0:3], v85 offset:8448
	ds_read_b128 v[4:7], v10 offset:16896
	s_waitcnt lgkmcnt(0)
	v_add_f64 v[8:9], v[0:1], -v[4:5]
	v_add_f64 v[11:12], v[2:3], v[6:7]
	v_add_f64 v[2:3], v[2:3], -v[6:7]
	v_add_f64 v[0:1], v[0:1], v[4:5]
	v_mul_f64 v[6:7], v[8:9], 0.5
	v_mul_f64 v[8:9], v[11:12], 0.5
	;; [unrolled: 1-line block ×3, first 2 shown]
	s_waitcnt vmcnt(0)
	v_mul_f64 v[4:5], v[6:7], v[21:22]
	v_fma_f64 v[11:12], v[8:9], v[21:22], v[2:3]
	v_fma_f64 v[13:14], v[8:9], v[21:22], -v[2:3]
	v_fma_f64 v[15:16], v[0:1], 0.5, v[4:5]
	v_fma_f64 v[4:5], v[0:1], 0.5, -v[4:5]
	v_fma_f64 v[2:3], -v[19:20], v[6:7], v[11:12]
	v_fma_f64 v[6:7], -v[19:20], v[6:7], v[13:14]
	v_fma_f64 v[0:1], v[8:9], v[19:20], v[15:16]
	v_fma_f64 v[4:5], -v[8:9], v[19:20], v[4:5]
	ds_write_b128 v85, v[0:3] offset:8448
	ds_write_b128 v10, v[4:7] offset:16896
	s_and_saveexec_b32 s1, s0
	s_cbranch_execz .LBB0_33
; %bb.32:
	v_mov_b32_e32 v77, v73
	v_lshlrev_b64 v[0:1], 4, v[76:77]
	v_add_co_u32 v0, s0, s4, v0
	v_add_co_ci_u32_e64 v1, s0, s5, v1, s0
	global_load_dwordx4 v[0:3], v[0:1], off
	ds_read_b128 v[4:7], v84 offset:11264
	ds_read_b128 v[11:14], v10 offset:14080
	s_waitcnt lgkmcnt(0)
	v_add_f64 v[8:9], v[4:5], -v[11:12]
	v_add_f64 v[15:16], v[6:7], v[13:14]
	v_add_f64 v[6:7], v[6:7], -v[13:14]
	v_add_f64 v[4:5], v[4:5], v[11:12]
	v_mul_f64 v[8:9], v[8:9], 0.5
	v_mul_f64 v[13:14], v[15:16], 0.5
	;; [unrolled: 1-line block ×3, first 2 shown]
	s_waitcnt vmcnt(0)
	v_mul_f64 v[11:12], v[8:9], v[2:3]
	v_fma_f64 v[15:16], v[13:14], v[2:3], v[6:7]
	v_fma_f64 v[2:3], v[13:14], v[2:3], -v[6:7]
	v_fma_f64 v[6:7], v[4:5], 0.5, v[11:12]
	v_fma_f64 v[11:12], v[4:5], 0.5, -v[11:12]
	v_fma_f64 v[4:5], -v[0:1], v[8:9], v[15:16]
	v_fma_f64 v[8:9], -v[0:1], v[8:9], v[2:3]
	v_fma_f64 v[2:3], v[13:14], v[0:1], v[6:7]
	v_fma_f64 v[6:7], -v[13:14], v[0:1], v[11:12]
	ds_write_b128 v84, v[2:5] offset:11264
	ds_write_b128 v10, v[6:9] offset:14080
.LBB0_33:
	s_or_b32 exec_lo, exec_lo, s1
	s_waitcnt lgkmcnt(0)
	s_barrier
	buffer_gl0_inv
	s_and_saveexec_b32 s0, vcc_lo
	s_cbranch_execz .LBB0_36
; %bb.34:
	v_mov_b32_e32 v69, 0
	ds_read_b128 v[2:5], v84
	v_add_co_u32 v0, vcc_lo, s2, v70
	v_add_co_ci_u32_e32 v1, vcc_lo, s3, v71, vcc_lo
	v_lshlrev_b64 v[18:19], 4, v[68:69]
	ds_read_b128 v[6:9], v84 offset:2816
	ds_read_b128 v[10:13], v84 offset:5632
	;; [unrolled: 1-line block ×3, first 2 shown]
	v_add_co_u32 v22, vcc_lo, v0, v18
	v_add_co_ci_u32_e32 v23, vcc_lo, v1, v19, vcc_lo
	ds_read_b128 v[18:21], v84 offset:11264
	v_add_co_u32 v24, vcc_lo, 0x800, v22
	v_add_co_ci_u32_e32 v25, vcc_lo, 0, v23, vcc_lo
	s_waitcnt lgkmcnt(4)
	global_store_dwordx4 v[22:23], v[2:5], off
	v_add_co_u32 v2, vcc_lo, 0x1000, v22
	v_add_co_ci_u32_e32 v3, vcc_lo, 0, v23, vcc_lo
	v_add_co_u32 v4, vcc_lo, 0x2000, v22
	v_add_co_ci_u32_e32 v5, vcc_lo, 0, v23, vcc_lo
	v_add_co_u32 v26, vcc_lo, 0x2800, v22
	v_add_co_ci_u32_e32 v27, vcc_lo, 0, v23, vcc_lo
	s_waitcnt lgkmcnt(3)
	global_store_dwordx4 v[24:25], v[6:9], off offset:768
	s_waitcnt lgkmcnt(2)
	global_store_dwordx4 v[2:3], v[10:13], off offset:1536
	;; [unrolled: 2-line block ×3, first 2 shown]
	ds_read_b128 v[2:5], v84 offset:14080
	s_waitcnt lgkmcnt(1)
	global_store_dwordx4 v[26:27], v[18:21], off offset:1024
	ds_read_b128 v[6:9], v84 offset:16896
	ds_read_b128 v[10:13], v84 offset:19712
	;; [unrolled: 1-line block ×3, first 2 shown]
	v_add_co_u32 v18, vcc_lo, 0x3000, v22
	v_add_co_ci_u32_e32 v19, vcc_lo, 0, v23, vcc_lo
	v_add_co_u32 v20, vcc_lo, 0x4000, v22
	v_add_co_ci_u32_e32 v21, vcc_lo, 0, v23, vcc_lo
	;; [unrolled: 2-line block ×4, first 2 shown]
	v_cmp_eq_u32_e32 vcc_lo, 0xaf, v68
	s_waitcnt lgkmcnt(3)
	global_store_dwordx4 v[18:19], v[2:5], off offset:1792
	s_waitcnt lgkmcnt(2)
	global_store_dwordx4 v[20:21], v[6:9], off offset:512
	;; [unrolled: 2-line block ×3, first 2 shown]
	s_waitcnt lgkmcnt(0)
	global_store_dwordx4 v[22:23], v[14:17], off
	s_and_b32 exec_lo, exec_lo, vcc_lo
	s_cbranch_execz .LBB0_36
; %bb.35:
	ds_read_b128 v[2:5], v69 offset:25344
	v_add_co_u32 v0, vcc_lo, 0x6000, v0
	v_add_co_ci_u32_e32 v1, vcc_lo, 0, v1, vcc_lo
	s_waitcnt lgkmcnt(0)
	global_store_dwordx4 v[0:1], v[2:5], off offset:768
.LBB0_36:
	s_endpgm
	.section	.rodata,"a",@progbits
	.p2align	6, 0x0
	.amdhsa_kernel fft_rtc_back_len1584_factors_4_2_2_11_3_3_wgs_176_tpt_176_halfLds_dp_ip_CI_unitstride_sbrr_R2C_dirReg
		.amdhsa_group_segment_fixed_size 0
		.amdhsa_private_segment_fixed_size 0
		.amdhsa_kernarg_size 88
		.amdhsa_user_sgpr_count 6
		.amdhsa_user_sgpr_private_segment_buffer 1
		.amdhsa_user_sgpr_dispatch_ptr 0
		.amdhsa_user_sgpr_queue_ptr 0
		.amdhsa_user_sgpr_kernarg_segment_ptr 1
		.amdhsa_user_sgpr_dispatch_id 0
		.amdhsa_user_sgpr_flat_scratch_init 0
		.amdhsa_user_sgpr_private_segment_size 0
		.amdhsa_wavefront_size32 1
		.amdhsa_uses_dynamic_stack 0
		.amdhsa_system_sgpr_private_segment_wavefront_offset 0
		.amdhsa_system_sgpr_workgroup_id_x 1
		.amdhsa_system_sgpr_workgroup_id_y 0
		.amdhsa_system_sgpr_workgroup_id_z 0
		.amdhsa_system_sgpr_workgroup_info 0
		.amdhsa_system_vgpr_workitem_id 0
		.amdhsa_next_free_vgpr 254
		.amdhsa_next_free_sgpr 34
		.amdhsa_reserve_vcc 1
		.amdhsa_reserve_flat_scratch 0
		.amdhsa_float_round_mode_32 0
		.amdhsa_float_round_mode_16_64 0
		.amdhsa_float_denorm_mode_32 3
		.amdhsa_float_denorm_mode_16_64 3
		.amdhsa_dx10_clamp 1
		.amdhsa_ieee_mode 1
		.amdhsa_fp16_overflow 0
		.amdhsa_workgroup_processor_mode 1
		.amdhsa_memory_ordered 1
		.amdhsa_forward_progress 0
		.amdhsa_shared_vgpr_count 0
		.amdhsa_exception_fp_ieee_invalid_op 0
		.amdhsa_exception_fp_denorm_src 0
		.amdhsa_exception_fp_ieee_div_zero 0
		.amdhsa_exception_fp_ieee_overflow 0
		.amdhsa_exception_fp_ieee_underflow 0
		.amdhsa_exception_fp_ieee_inexact 0
		.amdhsa_exception_int_div_zero 0
	.end_amdhsa_kernel
	.text
.Lfunc_end0:
	.size	fft_rtc_back_len1584_factors_4_2_2_11_3_3_wgs_176_tpt_176_halfLds_dp_ip_CI_unitstride_sbrr_R2C_dirReg, .Lfunc_end0-fft_rtc_back_len1584_factors_4_2_2_11_3_3_wgs_176_tpt_176_halfLds_dp_ip_CI_unitstride_sbrr_R2C_dirReg
                                        ; -- End function
	.section	.AMDGPU.csdata,"",@progbits
; Kernel info:
; codeLenInByte = 10436
; NumSgprs: 36
; NumVgprs: 254
; ScratchSize: 0
; MemoryBound: 0
; FloatMode: 240
; IeeeMode: 1
; LDSByteSize: 0 bytes/workgroup (compile time only)
; SGPRBlocks: 4
; VGPRBlocks: 31
; NumSGPRsForWavesPerEU: 36
; NumVGPRsForWavesPerEU: 254
; Occupancy: 4
; WaveLimiterHint : 1
; COMPUTE_PGM_RSRC2:SCRATCH_EN: 0
; COMPUTE_PGM_RSRC2:USER_SGPR: 6
; COMPUTE_PGM_RSRC2:TRAP_HANDLER: 0
; COMPUTE_PGM_RSRC2:TGID_X_EN: 1
; COMPUTE_PGM_RSRC2:TGID_Y_EN: 0
; COMPUTE_PGM_RSRC2:TGID_Z_EN: 0
; COMPUTE_PGM_RSRC2:TIDIG_COMP_CNT: 0
	.text
	.p2alignl 6, 3214868480
	.fill 48, 4, 3214868480
	.type	__hip_cuid_1b30cec7c9a36b51,@object ; @__hip_cuid_1b30cec7c9a36b51
	.section	.bss,"aw",@nobits
	.globl	__hip_cuid_1b30cec7c9a36b51
__hip_cuid_1b30cec7c9a36b51:
	.byte	0                               ; 0x0
	.size	__hip_cuid_1b30cec7c9a36b51, 1

	.ident	"AMD clang version 19.0.0git (https://github.com/RadeonOpenCompute/llvm-project roc-6.4.0 25133 c7fe45cf4b819c5991fe208aaa96edf142730f1d)"
	.section	".note.GNU-stack","",@progbits
	.addrsig
	.addrsig_sym __hip_cuid_1b30cec7c9a36b51
	.amdgpu_metadata
---
amdhsa.kernels:
  - .args:
      - .actual_access:  read_only
        .address_space:  global
        .offset:         0
        .size:           8
        .value_kind:     global_buffer
      - .offset:         8
        .size:           8
        .value_kind:     by_value
      - .actual_access:  read_only
        .address_space:  global
        .offset:         16
        .size:           8
        .value_kind:     global_buffer
      - .actual_access:  read_only
        .address_space:  global
        .offset:         24
        .size:           8
        .value_kind:     global_buffer
      - .offset:         32
        .size:           8
        .value_kind:     by_value
      - .actual_access:  read_only
        .address_space:  global
        .offset:         40
        .size:           8
        .value_kind:     global_buffer
      - .actual_access:  read_only
        .address_space:  global
        .offset:         48
        .size:           8
        .value_kind:     global_buffer
      - .offset:         56
        .size:           4
        .value_kind:     by_value
      - .actual_access:  read_only
        .address_space:  global
        .offset:         64
        .size:           8
        .value_kind:     global_buffer
      - .actual_access:  read_only
        .address_space:  global
        .offset:         72
        .size:           8
        .value_kind:     global_buffer
      - .address_space:  global
        .offset:         80
        .size:           8
        .value_kind:     global_buffer
    .group_segment_fixed_size: 0
    .kernarg_segment_align: 8
    .kernarg_segment_size: 88
    .language:       OpenCL C
    .language_version:
      - 2
      - 0
    .max_flat_workgroup_size: 176
    .name:           fft_rtc_back_len1584_factors_4_2_2_11_3_3_wgs_176_tpt_176_halfLds_dp_ip_CI_unitstride_sbrr_R2C_dirReg
    .private_segment_fixed_size: 0
    .sgpr_count:     36
    .sgpr_spill_count: 0
    .symbol:         fft_rtc_back_len1584_factors_4_2_2_11_3_3_wgs_176_tpt_176_halfLds_dp_ip_CI_unitstride_sbrr_R2C_dirReg.kd
    .uniform_work_group_size: 1
    .uses_dynamic_stack: false
    .vgpr_count:     254
    .vgpr_spill_count: 0
    .wavefront_size: 32
    .workgroup_processor_mode: 1
amdhsa.target:   amdgcn-amd-amdhsa--gfx1030
amdhsa.version:
  - 1
  - 2
...

	.end_amdgpu_metadata
